;; amdgpu-corpus repo=ROCm/rocFFT kind=compiled arch=gfx1201 opt=O3
	.text
	.amdgcn_target "amdgcn-amd-amdhsa--gfx1201"
	.amdhsa_code_object_version 6
	.protected	fft_rtc_fwd_len800_factors_16_5_10_wgs_160_tpt_160_halfLds_sp_ip_CI_unitstride_sbrr_R2C_dirReg ; -- Begin function fft_rtc_fwd_len800_factors_16_5_10_wgs_160_tpt_160_halfLds_sp_ip_CI_unitstride_sbrr_R2C_dirReg
	.globl	fft_rtc_fwd_len800_factors_16_5_10_wgs_160_tpt_160_halfLds_sp_ip_CI_unitstride_sbrr_R2C_dirReg
	.p2align	8
	.type	fft_rtc_fwd_len800_factors_16_5_10_wgs_160_tpt_160_halfLds_sp_ip_CI_unitstride_sbrr_R2C_dirReg,@function
fft_rtc_fwd_len800_factors_16_5_10_wgs_160_tpt_160_halfLds_sp_ip_CI_unitstride_sbrr_R2C_dirReg: ; @fft_rtc_fwd_len800_factors_16_5_10_wgs_160_tpt_160_halfLds_sp_ip_CI_unitstride_sbrr_R2C_dirReg
; %bb.0:
	s_clause 0x2
	s_load_b128 s[4:7], s[0:1], 0x0
	s_load_b64 s[8:9], s[0:1], 0x50
	s_load_b64 s[10:11], s[0:1], 0x18
	v_mul_u32_u24_e32 v1, 0x19a, v0
	v_mov_b32_e32 v3, 0
	s_delay_alu instid0(VALU_DEP_2) | instskip(NEXT) | instid1(VALU_DEP_1)
	v_lshrrev_b32_e32 v1, 16, v1
	v_add_nc_u32_e32 v5, ttmp9, v1
	v_mov_b32_e32 v1, 0
	v_mov_b32_e32 v2, 0
	;; [unrolled: 1-line block ×3, first 2 shown]
	s_wait_kmcnt 0x0
	v_cmp_lt_u64_e64 s2, s[6:7], 2
	s_delay_alu instid0(VALU_DEP_1)
	s_and_b32 vcc_lo, exec_lo, s2
	s_cbranch_vccnz .LBB0_8
; %bb.1:
	s_load_b64 s[2:3], s[0:1], 0x10
	v_mov_b32_e32 v1, 0
	v_mov_b32_e32 v2, 0
	s_add_nc_u64 s[12:13], s[10:11], 8
	s_mov_b64 s[14:15], 1
	s_wait_kmcnt 0x0
	s_add_nc_u64 s[16:17], s[2:3], 8
	s_mov_b32 s3, 0
.LBB0_2:                                ; =>This Inner Loop Header: Depth=1
	s_load_b64 s[18:19], s[16:17], 0x0
                                        ; implicit-def: $vgpr7_vgpr8
	s_mov_b32 s2, exec_lo
	s_wait_kmcnt 0x0
	v_or_b32_e32 v4, s19, v6
	s_delay_alu instid0(VALU_DEP_1)
	v_cmpx_ne_u64_e32 0, v[3:4]
	s_wait_alu 0xfffe
	s_xor_b32 s20, exec_lo, s2
	s_cbranch_execz .LBB0_4
; %bb.3:                                ;   in Loop: Header=BB0_2 Depth=1
	s_cvt_f32_u32 s2, s18
	s_cvt_f32_u32 s21, s19
	s_sub_nc_u64 s[24:25], 0, s[18:19]
	s_wait_alu 0xfffe
	s_delay_alu instid0(SALU_CYCLE_1) | instskip(SKIP_1) | instid1(SALU_CYCLE_2)
	s_fmamk_f32 s2, s21, 0x4f800000, s2
	s_wait_alu 0xfffe
	v_s_rcp_f32 s2, s2
	s_delay_alu instid0(TRANS32_DEP_1) | instskip(SKIP_1) | instid1(SALU_CYCLE_2)
	s_mul_f32 s2, s2, 0x5f7ffffc
	s_wait_alu 0xfffe
	s_mul_f32 s21, s2, 0x2f800000
	s_wait_alu 0xfffe
	s_delay_alu instid0(SALU_CYCLE_2) | instskip(SKIP_1) | instid1(SALU_CYCLE_2)
	s_trunc_f32 s21, s21
	s_wait_alu 0xfffe
	s_fmamk_f32 s2, s21, 0xcf800000, s2
	s_cvt_u32_f32 s23, s21
	s_wait_alu 0xfffe
	s_delay_alu instid0(SALU_CYCLE_1) | instskip(SKIP_1) | instid1(SALU_CYCLE_2)
	s_cvt_u32_f32 s22, s2
	s_wait_alu 0xfffe
	s_mul_u64 s[26:27], s[24:25], s[22:23]
	s_wait_alu 0xfffe
	s_mul_hi_u32 s29, s22, s27
	s_mul_i32 s28, s22, s27
	s_mul_hi_u32 s2, s22, s26
	s_mul_i32 s30, s23, s26
	s_wait_alu 0xfffe
	s_add_nc_u64 s[28:29], s[2:3], s[28:29]
	s_mul_hi_u32 s21, s23, s26
	s_mul_hi_u32 s31, s23, s27
	s_add_co_u32 s2, s28, s30
	s_wait_alu 0xfffe
	s_add_co_ci_u32 s2, s29, s21
	s_mul_i32 s26, s23, s27
	s_add_co_ci_u32 s27, s31, 0
	s_wait_alu 0xfffe
	s_add_nc_u64 s[26:27], s[2:3], s[26:27]
	s_wait_alu 0xfffe
	v_add_co_u32 v4, s2, s22, s26
	s_delay_alu instid0(VALU_DEP_1) | instskip(SKIP_1) | instid1(VALU_DEP_1)
	s_cmp_lg_u32 s2, 0
	s_add_co_ci_u32 s23, s23, s27
	v_readfirstlane_b32 s22, v4
	s_wait_alu 0xfffe
	s_delay_alu instid0(VALU_DEP_1)
	s_mul_u64 s[24:25], s[24:25], s[22:23]
	s_wait_alu 0xfffe
	s_mul_hi_u32 s27, s22, s25
	s_mul_i32 s26, s22, s25
	s_mul_hi_u32 s2, s22, s24
	s_mul_i32 s28, s23, s24
	s_wait_alu 0xfffe
	s_add_nc_u64 s[26:27], s[2:3], s[26:27]
	s_mul_hi_u32 s21, s23, s24
	s_mul_hi_u32 s22, s23, s25
	s_wait_alu 0xfffe
	s_add_co_u32 s2, s26, s28
	s_add_co_ci_u32 s2, s27, s21
	s_mul_i32 s24, s23, s25
	s_add_co_ci_u32 s25, s22, 0
	s_wait_alu 0xfffe
	s_add_nc_u64 s[24:25], s[2:3], s[24:25]
	s_wait_alu 0xfffe
	v_add_co_u32 v4, s2, v4, s24
	s_delay_alu instid0(VALU_DEP_1) | instskip(SKIP_1) | instid1(VALU_DEP_1)
	s_cmp_lg_u32 s2, 0
	s_add_co_ci_u32 s2, s23, s25
	v_mul_hi_u32 v13, v5, v4
	s_wait_alu 0xfffe
	v_mad_co_u64_u32 v[7:8], null, v5, s2, 0
	v_mad_co_u64_u32 v[9:10], null, v6, v4, 0
	;; [unrolled: 1-line block ×3, first 2 shown]
	s_delay_alu instid0(VALU_DEP_3) | instskip(SKIP_1) | instid1(VALU_DEP_4)
	v_add_co_u32 v4, vcc_lo, v13, v7
	s_wait_alu 0xfffd
	v_add_co_ci_u32_e32 v7, vcc_lo, 0, v8, vcc_lo
	s_delay_alu instid0(VALU_DEP_2) | instskip(SKIP_1) | instid1(VALU_DEP_2)
	v_add_co_u32 v4, vcc_lo, v4, v9
	s_wait_alu 0xfffd
	v_add_co_ci_u32_e32 v4, vcc_lo, v7, v10, vcc_lo
	s_wait_alu 0xfffd
	v_add_co_ci_u32_e32 v7, vcc_lo, 0, v12, vcc_lo
	s_delay_alu instid0(VALU_DEP_2) | instskip(SKIP_1) | instid1(VALU_DEP_2)
	v_add_co_u32 v4, vcc_lo, v4, v11
	s_wait_alu 0xfffd
	v_add_co_ci_u32_e32 v9, vcc_lo, 0, v7, vcc_lo
	s_delay_alu instid0(VALU_DEP_2) | instskip(SKIP_1) | instid1(VALU_DEP_3)
	v_mul_lo_u32 v10, s19, v4
	v_mad_co_u64_u32 v[7:8], null, s18, v4, 0
	v_mul_lo_u32 v11, s18, v9
	s_delay_alu instid0(VALU_DEP_2) | instskip(NEXT) | instid1(VALU_DEP_2)
	v_sub_co_u32 v7, vcc_lo, v5, v7
	v_add3_u32 v8, v8, v11, v10
	s_delay_alu instid0(VALU_DEP_1) | instskip(SKIP_1) | instid1(VALU_DEP_1)
	v_sub_nc_u32_e32 v10, v6, v8
	s_wait_alu 0xfffd
	v_subrev_co_ci_u32_e64 v10, s2, s19, v10, vcc_lo
	v_add_co_u32 v11, s2, v4, 2
	s_wait_alu 0xf1ff
	v_add_co_ci_u32_e64 v12, s2, 0, v9, s2
	v_sub_co_u32 v13, s2, v7, s18
	v_sub_co_ci_u32_e32 v8, vcc_lo, v6, v8, vcc_lo
	s_wait_alu 0xf1ff
	v_subrev_co_ci_u32_e64 v10, s2, 0, v10, s2
	s_delay_alu instid0(VALU_DEP_3) | instskip(NEXT) | instid1(VALU_DEP_3)
	v_cmp_le_u32_e32 vcc_lo, s18, v13
	v_cmp_eq_u32_e64 s2, s19, v8
	s_wait_alu 0xfffd
	v_cndmask_b32_e64 v13, 0, -1, vcc_lo
	v_cmp_le_u32_e32 vcc_lo, s19, v10
	s_wait_alu 0xfffd
	v_cndmask_b32_e64 v14, 0, -1, vcc_lo
	v_cmp_le_u32_e32 vcc_lo, s18, v7
	;; [unrolled: 3-line block ×3, first 2 shown]
	s_wait_alu 0xfffd
	v_cndmask_b32_e64 v15, 0, -1, vcc_lo
	v_cmp_eq_u32_e32 vcc_lo, s19, v10
	s_wait_alu 0xf1ff
	s_delay_alu instid0(VALU_DEP_2)
	v_cndmask_b32_e64 v7, v15, v7, s2
	s_wait_alu 0xfffd
	v_cndmask_b32_e32 v10, v14, v13, vcc_lo
	v_add_co_u32 v13, vcc_lo, v4, 1
	s_wait_alu 0xfffd
	v_add_co_ci_u32_e32 v14, vcc_lo, 0, v9, vcc_lo
	s_delay_alu instid0(VALU_DEP_3) | instskip(SKIP_2) | instid1(VALU_DEP_3)
	v_cmp_ne_u32_e32 vcc_lo, 0, v10
	s_wait_alu 0xfffd
	v_cndmask_b32_e32 v10, v13, v11, vcc_lo
	v_cndmask_b32_e32 v8, v14, v12, vcc_lo
	v_cmp_ne_u32_e32 vcc_lo, 0, v7
	s_wait_alu 0xfffd
	s_delay_alu instid0(VALU_DEP_2)
	v_dual_cndmask_b32 v7, v4, v10 :: v_dual_cndmask_b32 v8, v9, v8
.LBB0_4:                                ;   in Loop: Header=BB0_2 Depth=1
	s_wait_alu 0xfffe
	s_and_not1_saveexec_b32 s2, s20
	s_cbranch_execz .LBB0_6
; %bb.5:                                ;   in Loop: Header=BB0_2 Depth=1
	v_cvt_f32_u32_e32 v4, s18
	s_sub_co_i32 s20, 0, s18
	s_delay_alu instid0(VALU_DEP_1) | instskip(NEXT) | instid1(TRANS32_DEP_1)
	v_rcp_iflag_f32_e32 v4, v4
	v_mul_f32_e32 v4, 0x4f7ffffe, v4
	s_delay_alu instid0(VALU_DEP_1) | instskip(SKIP_1) | instid1(VALU_DEP_1)
	v_cvt_u32_f32_e32 v4, v4
	s_wait_alu 0xfffe
	v_mul_lo_u32 v7, s20, v4
	s_delay_alu instid0(VALU_DEP_1) | instskip(NEXT) | instid1(VALU_DEP_1)
	v_mul_hi_u32 v7, v4, v7
	v_add_nc_u32_e32 v4, v4, v7
	s_delay_alu instid0(VALU_DEP_1) | instskip(NEXT) | instid1(VALU_DEP_1)
	v_mul_hi_u32 v4, v5, v4
	v_mul_lo_u32 v7, v4, s18
	v_add_nc_u32_e32 v8, 1, v4
	s_delay_alu instid0(VALU_DEP_2) | instskip(NEXT) | instid1(VALU_DEP_1)
	v_sub_nc_u32_e32 v7, v5, v7
	v_subrev_nc_u32_e32 v9, s18, v7
	v_cmp_le_u32_e32 vcc_lo, s18, v7
	s_wait_alu 0xfffd
	s_delay_alu instid0(VALU_DEP_2) | instskip(NEXT) | instid1(VALU_DEP_1)
	v_dual_cndmask_b32 v7, v7, v9 :: v_dual_cndmask_b32 v4, v4, v8
	v_cmp_le_u32_e32 vcc_lo, s18, v7
	s_delay_alu instid0(VALU_DEP_2) | instskip(SKIP_1) | instid1(VALU_DEP_1)
	v_add_nc_u32_e32 v8, 1, v4
	s_wait_alu 0xfffd
	v_dual_cndmask_b32 v7, v4, v8 :: v_dual_mov_b32 v8, v3
.LBB0_6:                                ;   in Loop: Header=BB0_2 Depth=1
	s_wait_alu 0xfffe
	s_or_b32 exec_lo, exec_lo, s2
	s_load_b64 s[20:21], s[12:13], 0x0
	s_delay_alu instid0(VALU_DEP_1)
	v_mul_lo_u32 v4, v8, s18
	v_mul_lo_u32 v11, v7, s19
	v_mad_co_u64_u32 v[9:10], null, v7, s18, 0
	s_add_nc_u64 s[14:15], s[14:15], 1
	s_add_nc_u64 s[12:13], s[12:13], 8
	s_wait_alu 0xfffe
	v_cmp_ge_u64_e64 s2, s[14:15], s[6:7]
	s_add_nc_u64 s[16:17], s[16:17], 8
	s_delay_alu instid0(VALU_DEP_2) | instskip(NEXT) | instid1(VALU_DEP_3)
	v_add3_u32 v4, v10, v11, v4
	v_sub_co_u32 v5, vcc_lo, v5, v9
	s_wait_alu 0xfffd
	s_delay_alu instid0(VALU_DEP_2) | instskip(SKIP_3) | instid1(VALU_DEP_2)
	v_sub_co_ci_u32_e32 v4, vcc_lo, v6, v4, vcc_lo
	s_and_b32 vcc_lo, exec_lo, s2
	s_wait_kmcnt 0x0
	v_mul_lo_u32 v6, s21, v5
	v_mul_lo_u32 v4, s20, v4
	v_mad_co_u64_u32 v[1:2], null, s20, v5, v[1:2]
	s_delay_alu instid0(VALU_DEP_1)
	v_add3_u32 v2, v6, v2, v4
	s_wait_alu 0xfffe
	s_cbranch_vccnz .LBB0_9
; %bb.7:                                ;   in Loop: Header=BB0_2 Depth=1
	v_dual_mov_b32 v5, v7 :: v_dual_mov_b32 v6, v8
	s_branch .LBB0_2
.LBB0_8:
	v_dual_mov_b32 v8, v6 :: v_dual_mov_b32 v7, v5
.LBB0_9:
	s_lshl_b64 s[2:3], s[6:7], 3
	v_mul_hi_u32 v3, 0x199999a, v0
	s_wait_alu 0xfffe
	s_add_nc_u64 s[2:3], s[10:11], s[2:3]
	s_load_b64 s[2:3], s[2:3], 0x0
	s_load_b64 s[0:1], s[0:1], 0x20
	s_delay_alu instid0(VALU_DEP_1) | instskip(NEXT) | instid1(VALU_DEP_1)
	v_mul_u32_u24_e32 v3, 0xa0, v3
	v_sub_nc_u32_e32 v20, v0, v3
	s_delay_alu instid0(VALU_DEP_1)
	v_lshl_add_u32 v24, v20, 3, 0
	s_wait_kmcnt 0x0
	v_mul_lo_u32 v4, s2, v8
	v_mul_lo_u32 v5, s3, v7
	v_mad_co_u64_u32 v[1:2], null, s2, v7, v[1:2]
	v_cmp_gt_u64_e32 vcc_lo, s[0:1], v[7:8]
	s_delay_alu instid0(VALU_DEP_2) | instskip(NEXT) | instid1(VALU_DEP_1)
	v_add3_u32 v2, v5, v2, v4
	v_lshlrev_b64_e32 v[22:23], 3, v[1:2]
	s_and_saveexec_b32 s1, vcc_lo
	s_cbranch_execz .LBB0_11
; %bb.10:
	v_dual_mov_b32 v21, 0 :: v_dual_add_nc_u32 v10, 0x800, v24
	s_delay_alu instid0(VALU_DEP_2) | instskip(SKIP_2) | instid1(VALU_DEP_3)
	v_add_co_u32 v2, s0, s8, v22
	s_wait_alu 0xf1ff
	v_add_co_ci_u32_e64 v3, s0, s9, v23, s0
	v_lshlrev_b64_e32 v[0:1], 3, v[20:21]
	s_delay_alu instid0(VALU_DEP_1) | instskip(SKIP_1) | instid1(VALU_DEP_2)
	v_add_co_u32 v0, s0, v2, v0
	s_wait_alu 0xf1ff
	v_add_co_ci_u32_e64 v1, s0, v3, v1, s0
	s_clause 0x4
	global_load_b64 v[2:3], v[0:1], off
	global_load_b64 v[4:5], v[0:1], off offset:1280
	global_load_b64 v[6:7], v[0:1], off offset:2560
	;; [unrolled: 1-line block ×4, first 2 shown]
	s_wait_loadcnt 0x3
	ds_store_2addr_b64 v24, v[2:3], v[4:5] offset1:160
	s_wait_loadcnt 0x1
	ds_store_2addr_b64 v10, v[6:7], v[8:9] offset0:64 offset1:224
	s_wait_loadcnt 0x0
	ds_store_b64 v24, v[0:1] offset:5120
.LBB0_11:
	s_wait_alu 0xfffe
	s_or_b32 exec_lo, exec_lo, s1
	v_add_nc_u32_e32 v21, 0x800, v24
	v_add_nc_u32_e32 v33, 0x1000, v24
	global_wb scope:SCOPE_SE
	s_wait_dscnt 0x0
	s_barrier_signal -1
	s_barrier_wait -1
	global_inv scope:SCOPE_SE
	ds_load_2addr_b64 v[0:3], v24 offset1:50
	v_add_nc_u32_e32 v25, 0xc00, v24
	ds_load_2addr_b64 v[4:7], v21 offset0:144 offset1:194
	ds_load_2addr_b64 v[8:11], v24 offset0:200 offset1:250
	ds_load_2addr_b64 v[12:15], v33 offset0:88 offset1:138
	ds_load_2addr_b64 v[16:19], v24 offset0:100 offset1:150
	ds_load_2addr_b64 v[25:28], v25 offset0:116 offset1:166
	ds_load_2addr_b64 v[29:32], v21 offset0:44 offset1:94
	ds_load_2addr_b64 v[33:36], v33 offset0:188 offset1:238
	s_mov_b32 s1, exec_lo
	global_wb scope:SCOPE_SE
	s_wait_dscnt 0x0
	s_barrier_signal -1
	s_barrier_wait -1
	global_inv scope:SCOPE_SE
	v_dual_sub_f32 v12, v8, v12 :: v_dual_sub_f32 v13, v9, v13
	v_dual_sub_f32 v4, v0, v4 :: v_dual_sub_f32 v5, v1, v5
	v_sub_f32_e32 v26, v17, v26
	v_dual_sub_f32 v34, v30, v34 :: v_dual_sub_f32 v25, v16, v25
	v_dual_sub_f32 v14, v10, v14 :: v_dual_sub_f32 v33, v29, v33
	v_sub_f32_e32 v28, v19, v28
	v_dual_sub_f32 v6, v2, v6 :: v_dual_sub_f32 v7, v3, v7
	v_sub_f32_e32 v36, v32, v36
	v_fma_f32 v0, v0, 2.0, -v4
	v_fma_f32 v8, v8, 2.0, -v12
	;; [unrolled: 1-line block ×4, first 2 shown]
	v_sub_f32_e32 v15, v11, v15
	v_sub_f32_e32 v27, v18, v27
	;; [unrolled: 1-line block ×3, first 2 shown]
	v_fma_f32 v1, v1, 2.0, -v5
	v_fma_f32 v9, v9, 2.0, -v13
	v_fma_f32 v37, v16, 2.0, -v25
	v_fma_f32 v29, v29, 2.0, -v33
	v_fma_f32 v2, v2, 2.0, -v6
	v_fma_f32 v3, v3, 2.0, -v7
	v_fma_f32 v10, v10, 2.0, -v14
	v_fma_f32 v39, v18, 2.0, -v27
	v_sub_f32_e32 v16, v0, v8
	v_fma_f32 v11, v11, 2.0, -v15
	v_dual_add_f32 v21, v5, v12 :: v_dual_add_f32 v42, v26, v33
	v_sub_f32_e32 v12, v38, v30
	v_fma_f32 v41, v31, 2.0, -v35
	v_fma_f32 v40, v19, 2.0, -v28
	v_sub_f32_e32 v17, v1, v9
	v_sub_f32_e32 v18, v4, v13
	v_fma_f32 v8, v32, 2.0, -v36
	v_dual_sub_f32 v9, v37, v29 :: v_dual_add_f32 v32, v7, v14
	v_fma_f32 v5, v5, 2.0, -v21
	s_delay_alu instid0(VALU_DEP_3)
	v_dual_sub_f32 v13, v25, v34 :: v_dual_sub_f32 v8, v40, v8
	v_dual_sub_f32 v19, v2, v10 :: v_dual_add_f32 v44, v28, v35
	v_fma_f32 v34, v26, 2.0, -v42
	v_sub_f32_e32 v26, v3, v11
	v_sub_f32_e32 v11, v39, v41
	v_fma_f32 v0, v0, 2.0, -v16
	v_fma_f32 v1, v1, 2.0, -v17
	v_fmamk_f32 v46, v34, 0xbf3504f3, v5
	v_fma_f32 v4, v4, 2.0, -v18
	v_fma_f32 v29, v37, 2.0, -v9
	v_fma_f32 v10, v38, 2.0, -v12
	v_fma_f32 v30, v25, 2.0, -v13
	v_fma_f32 v2, v2, 2.0, -v19
	v_sub_f32_e32 v31, v6, v15
	v_fma_f32 v14, v39, 2.0, -v11
	v_dual_sub_f32 v15, v27, v36 :: v_dual_add_f32 v36, v17, v9
	v_fma_f32 v7, v7, 2.0, -v32
	v_fmamk_f32 v45, v30, 0xbf3504f3, v4
	s_delay_alu instid0(VALU_DEP_4) | instskip(NEXT) | instid1(VALU_DEP_4)
	v_dual_sub_f32 v25, v0, v29 :: v_dual_sub_f32 v38, v2, v14
	v_fma_f32 v41, v27, 2.0, -v15
	v_sub_f32_e32 v33, v1, v10
	v_fmac_f32_e32 v46, 0x3f3504f3, v30
	v_fma_f32 v6, v6, 2.0, -v31
	v_fma_f32 v10, v28, 2.0, -v44
	v_fmac_f32_e32 v45, 0xbf3504f3, v34
	v_fma_f32 v27, v0, 2.0, -v25
	v_dual_fmamk_f32 v37, v13, 0x3f3504f3, v18 :: v_dual_sub_f32 v34, v16, v12
	s_delay_alu instid0(VALU_DEP_4)
	v_fmamk_f32 v12, v10, 0xbf3504f3, v7
	v_fma_f32 v0, v2, 2.0, -v38
	v_fmamk_f32 v9, v41, 0xbf3504f3, v6
	v_fma_f32 v3, v3, 2.0, -v26
	v_fma_f32 v40, v40, 2.0, -v8
	v_dual_fmamk_f32 v39, v42, 0x3f3504f3, v21 :: v_dual_fmac_f32 v12, 0x3f3504f3, v41
	v_fmac_f32_e32 v37, 0xbf3504f3, v42
	v_dual_fmamk_f32 v42, v15, 0x3f3504f3, v31 :: v_dual_fmamk_f32 v43, v44, 0x3f3504f3, v32
	v_dual_add_f32 v41, v26, v11 :: v_dual_sub_f32 v0, v27, v0
	s_delay_alu instid0(VALU_DEP_2) | instskip(NEXT) | instid1(VALU_DEP_3)
	v_dual_fmac_f32 v9, 0xbf3504f3, v10 :: v_dual_fmac_f32 v42, 0xbf3504f3, v44
	v_fmac_f32_e32 v43, 0x3f3504f3, v15
	v_fma_f32 v30, v5, 2.0, -v46
	v_fma_f32 v7, v7, 2.0, -v12
	s_delay_alu instid0(VALU_DEP_4)
	v_fma_f32 v6, v6, 2.0, -v9
	v_sub_f32_e32 v35, v3, v40
	v_sub_f32_e32 v40, v19, v8
	v_fma_f32 v29, v4, 2.0, -v45
	v_fmac_f32_e32 v39, 0x3f3504f3, v13
	v_dual_fmamk_f32 v4, v9, 0x3ec3ef15, v45 :: v_dual_fmamk_f32 v5, v12, 0x3ec3ef15, v46
	v_fmamk_f32 v13, v41, 0x3f3504f3, v36
	v_fmamk_f32 v14, v42, 0x3f6c835e, v37
	v_fma_f32 v28, v1, 2.0, -v33
	s_delay_alu instid0(VALU_DEP_4)
	v_fmac_f32_e32 v4, 0xbf6c835e, v12
	v_fmamk_f32 v12, v40, 0x3f3504f3, v34
	v_fmamk_f32 v15, v43, 0x3f6c835e, v39
	;; [unrolled: 1-line block ×3, first 2 shown]
	v_fma_f32 v1, v3, 2.0, -v35
	v_fmamk_f32 v3, v7, 0xbf6c835e, v30
	v_fmac_f32_e32 v12, 0xbf3504f3, v41
	v_fmac_f32_e32 v5, 0x3f6c835e, v9
	;; [unrolled: 1-line block ×5, first 2 shown]
	v_dual_sub_f32 v1, v28, v1 :: v_dual_fmac_f32 v2, 0xbec3ef15, v7
	v_fmac_f32_e32 v3, 0x3ec3ef15, v6
	v_fma_f32 v6, v45, 2.0, -v4
	v_fma_f32 v7, v46, 2.0, -v5
	;; [unrolled: 1-line block ×6, first 2 shown]
	v_cmpx_gt_u32_e32 50, v20
	s_cbranch_execz .LBB0_13
; %bb.12:
	v_fma_f32 v36, v17, 2.0, -v36
	v_fma_f32 v41, v26, 2.0, -v41
	;; [unrolled: 1-line block ×6, first 2 shown]
	v_add_f32_e32 v17, v33, v38
	v_fma_f32 v18, v19, 2.0, -v40
	v_fmamk_f32 v19, v41, 0xbf3504f3, v36
	v_fmamk_f32 v32, v42, 0xbec3ef15, v21
	v_fma_f32 v38, v16, 2.0, -v34
	v_dual_fmamk_f32 v31, v39, 0xbec3ef15, v37 :: v_dual_sub_f32 v16, v25, v35
	s_delay_alu instid0(VALU_DEP_4) | instskip(NEXT) | instid1(VALU_DEP_4)
	v_fmac_f32_e32 v19, 0x3f3504f3, v18
	v_fmac_f32_e32 v32, 0x3f6c835e, v39
	s_delay_alu instid0(VALU_DEP_4) | instskip(NEXT) | instid1(VALU_DEP_4)
	v_fmamk_f32 v18, v18, 0xbf3504f3, v38
	v_fmac_f32_e32 v31, 0xbf6c835e, v42
	v_fma_f32 v30, v30, 2.0, -v3
	v_fma_f32 v29, v29, 2.0, -v2
	;; [unrolled: 1-line block ×3, first 2 shown]
	v_fmac_f32_e32 v18, 0xbf3504f3, v41
	v_fma_f32 v28, v28, 2.0, -v1
	v_fma_f32 v27, v27, 2.0, -v0
	v_mad_u32_u24 v21, 0x78, v20, v24
	v_fma_f32 v26, v33, 2.0, -v17
	v_fma_f32 v33, v37, 2.0, -v31
	;; [unrolled: 1-line block ×5, first 2 shown]
	ds_store_2addr_b64 v21, v[27:28], v[29:30] offset1:1
	ds_store_2addr_b64 v21, v[35:36], v[33:34] offset0:2 offset1:3
	ds_store_2addr_b64 v21, v[25:26], v[6:7] offset0:4 offset1:5
	;; [unrolled: 1-line block ×7, first 2 shown]
.LBB0_13:
	s_wait_alu 0xfffe
	s_or_b32 exec_lo, exec_lo, s1
	v_and_b32_e32 v4, 15, v20
	global_wb scope:SCOPE_SE
	s_wait_dscnt 0x0
	s_barrier_signal -1
	s_barrier_wait -1
	global_inv scope:SCOPE_SE
	v_lshlrev_b32_e32 v5, 5, v4
	v_cmp_gt_u32_e64 s0, 0x50, v20
	s_clause 0x1
	global_load_b128 v[16:19], v5, s[4:5]
	global_load_b128 v[25:28], v5, s[4:5] offset:16
	v_add_nc_u32_e32 v12, 0xe00, v24
	ds_load_2addr_b32 v[14:15], v24 offset1:1
	ds_load_2addr_b64 v[33:36], v12 offset0:32 offset1:192
	v_add_nc_u32_e32 v5, 0x400, v24
	ds_load_2addr_b64 v[29:32], v5 offset0:32 offset1:192
	v_lshrrev_b32_e32 v5, 4, v20
	global_wb scope:SCOPE_SE
	s_wait_loadcnt_dscnt 0x0
	s_barrier_signal -1
	s_barrier_wait -1
	global_inv scope:SCOPE_SE
	v_mul_u32_u24_e32 v5, 0x50, v5
	s_delay_alu instid0(VALU_DEP_1) | instskip(NEXT) | instid1(VALU_DEP_1)
	v_or_b32_e32 v4, v5, v4
	v_lshl_add_u32 v21, v4, 3, 0
	v_mul_f32_e32 v4, v17, v30
	v_dual_mul_f32 v5, v17, v29 :: v_dual_mul_f32 v12, v19, v32
	v_mul_f32_e32 v17, v26, v34
	v_mul_f32_e32 v13, v19, v31
	v_dual_mul_f32 v19, v26, v33 :: v_dual_mul_f32 v26, v28, v36
	v_mul_f32_e32 v28, v28, v35
	v_fma_f32 v4, v16, v29, -v4
	v_fmac_f32_e32 v5, v16, v30
	v_fma_f32 v12, v18, v31, -v12
	v_fmac_f32_e32 v13, v18, v32
	v_fma_f32 v16, v25, v33, -v17
	v_add_f32_e32 v18, v4, v14
	v_dual_fmac_f32 v28, v27, v36 :: v_dual_fmac_f32 v19, v25, v34
	v_sub_f32_e32 v32, v12, v4
	v_fma_f32 v17, v27, v35, -v26
	v_dual_add_f32 v25, v12, v16 :: v_dual_add_f32 v34, v15, v5
	s_delay_alu instid0(VALU_DEP_4) | instskip(SKIP_1) | instid1(VALU_DEP_4)
	v_sub_f32_e32 v26, v5, v28
	v_dual_add_f32 v35, v13, v19 :: v_dual_sub_f32 v42, v19, v28
	v_add_f32_e32 v31, v4, v17
	v_dual_sub_f32 v39, v28, v19 :: v_dual_add_f32 v40, v5, v28
	v_dual_sub_f32 v27, v13, v19 :: v_dual_sub_f32 v36, v4, v17
	v_dual_sub_f32 v29, v4, v12 :: v_dual_sub_f32 v38, v5, v13
	;; [unrolled: 1-line block ×3, first 2 shown]
	v_sub_f32_e32 v37, v12, v16
	v_dual_sub_f32 v41, v13, v5 :: v_dual_add_f32 v12, v18, v12
	v_fma_f32 v4, -0.5, v25, v14
	v_fma_f32 v14, -0.5, v31, v14
	v_add_f32_e32 v13, v34, v13
	v_fma_f32 v5, -0.5, v35, v15
	v_fmac_f32_e32 v15, -0.5, v40
	v_dual_add_f32 v25, v29, v30 :: v_dual_add_f32 v16, v12, v16
	v_dual_add_f32 v29, v32, v33 :: v_dual_fmamk_f32 v18, v26, 0x3f737871, v4
	v_dual_add_f32 v30, v38, v39 :: v_dual_add_f32 v31, v41, v42
	v_fmac_f32_e32 v4, 0xbf737871, v26
	v_fmamk_f32 v12, v27, 0xbf737871, v14
	v_fmac_f32_e32 v14, 0x3f737871, v27
	v_dual_add_f32 v32, v13, v19 :: v_dual_fmamk_f32 v19, v36, 0xbf737871, v5
	v_dual_fmac_f32 v5, 0x3f737871, v36 :: v_dual_add_f32 v16, v16, v17
	v_fmamk_f32 v13, v37, 0x3f737871, v15
	v_fmac_f32_e32 v15, 0xbf737871, v37
	s_delay_alu instid0(VALU_DEP_4) | instskip(SKIP_4) | instid1(VALU_DEP_4)
	v_dual_fmac_f32 v18, 0x3f167918, v27 :: v_dual_add_f32 v17, v32, v28
	v_dual_fmac_f32 v4, 0xbf167918, v27 :: v_dual_fmac_f32 v19, 0xbf167918, v37
	v_dual_fmac_f32 v12, 0x3f167918, v26 :: v_dual_fmac_f32 v5, 0x3f167918, v37
	;; [unrolled: 1-line block ×3, first 2 shown]
	v_fmac_f32_e32 v15, 0x3f167918, v36
	v_dual_fmac_f32 v18, 0x3e9e377a, v25 :: v_dual_fmac_f32 v19, 0x3e9e377a, v30
	s_delay_alu instid0(VALU_DEP_3) | instskip(NEXT) | instid1(VALU_DEP_3)
	v_dual_fmac_f32 v4, 0x3e9e377a, v25 :: v_dual_fmac_f32 v13, 0x3e9e377a, v31
	v_dual_fmac_f32 v12, 0x3e9e377a, v29 :: v_dual_fmac_f32 v15, 0x3e9e377a, v31
	v_dual_fmac_f32 v14, 0x3e9e377a, v29 :: v_dual_fmac_f32 v5, 0x3e9e377a, v30
	ds_store_2addr_b64 v21, v[16:17], v[18:19] offset1:16
	ds_store_2addr_b64 v21, v[12:13], v[14:15] offset0:32 offset1:48
	ds_store_b64 v21, v[4:5] offset:512
	global_wb scope:SCOPE_SE
	s_wait_dscnt 0x0
	s_barrier_signal -1
	s_barrier_wait -1
	global_inv scope:SCOPE_SE
	s_and_saveexec_b32 s1, s0
	s_cbranch_execz .LBB0_15
; %bb.14:
	v_add_nc_u32_e32 v0, 0x800, v24
	v_add_nc_u32_e32 v1, 0xc00, v24
	;; [unrolled: 1-line block ×3, first 2 shown]
	ds_load_2addr_b64 v[16:19], v24 offset1:80
	ds_load_2addr_b64 v[12:15], v24 offset0:160 offset1:240
	ds_load_2addr_b64 v[4:7], v0 offset0:64 offset1:144
	;; [unrolled: 1-line block ×4, first 2 shown]
.LBB0_15:
	s_wait_alu 0xfffe
	s_or_b32 exec_lo, exec_lo, s1
	global_wb scope:SCOPE_SE
	s_wait_dscnt 0x0
	s_barrier_signal -1
	s_barrier_wait -1
	global_inv scope:SCOPE_SE
	s_and_saveexec_b32 s2, s0
	s_cbranch_execz .LBB0_17
; %bb.16:
	v_dual_mov_b32 v26, 0 :: v_dual_add_nc_u32 v21, 0xffffffb0, v20
	s_delay_alu instid0(VALU_DEP_1) | instskip(NEXT) | instid1(VALU_DEP_1)
	v_cndmask_b32_e64 v21, v21, v20, s0
	v_mul_i32_i24_e32 v25, 9, v21
	s_delay_alu instid0(VALU_DEP_1) | instskip(NEXT) | instid1(VALU_DEP_1)
	v_lshlrev_b64_e32 v[25:26], 3, v[25:26]
	v_add_co_u32 v41, s1, s4, v25
	s_wait_alu 0xf1ff
	s_delay_alu instid0(VALU_DEP_2)
	v_add_co_ci_u32_e64 v42, s1, s5, v26, s1
	s_clause 0x4
	global_load_b128 v[25:28], v[41:42], off offset:512
	global_load_b128 v[29:32], v[41:42], off offset:528
	;; [unrolled: 1-line block ×4, first 2 shown]
	global_load_b64 v[41:42], v[41:42], off offset:576
	v_add_nc_u32_e32 v43, 0xc00, v24
	v_add_nc_u32_e32 v44, 0x1000, v24
	;; [unrolled: 1-line block ×3, first 2 shown]
	s_wait_loadcnt 0x4
	v_mul_f32_e32 v45, v12, v28
	s_wait_loadcnt 0x3
	v_mul_f32_e32 v46, v4, v32
	;; [unrolled: 2-line block ×3, first 2 shown]
	s_wait_loadcnt 0x1
	v_dual_mul_f32 v48, v8, v40 :: v_dual_mul_f32 v53, v19, v26
	v_mul_f32_e32 v49, v15, v30
	s_wait_loadcnt 0x0
	v_mul_f32_e32 v51, v3, v42
	v_mul_f32_e32 v52, v11, v34
	v_mul_f32_e32 v30, v14, v30
	v_mul_f32_e32 v42, v2, v42
	v_mul_f32_e32 v50, v7, v38
	v_dual_mul_f32 v38, v6, v38 :: v_dual_fmac_f32 v45, v13, v27
	v_dual_mul_f32 v34, v10, v34 :: v_dual_fmac_f32 v47, v1, v35
	v_fma_f32 v2, v2, v41, -v51
	v_fmac_f32_e32 v48, v9, v39
	v_mul_f32_e32 v26, v18, v26
	v_fmac_f32_e32 v30, v15, v29
	v_fmac_f32_e32 v42, v3, v41
	v_mul_f32_e32 v40, v9, v40
	v_fma_f32 v9, v10, v33, -v52
	v_mul_f32_e32 v32, v5, v32
	v_fma_f32 v6, v6, v37, -v50
	v_fmac_f32_e32 v46, v5, v31
	v_fmac_f32_e32 v38, v7, v37
	v_mul_f32_e32 v36, v1, v36
	v_sub_f32_e32 v7, v47, v48
	v_fmac_f32_e32 v26, v19, v25
	v_sub_f32_e32 v15, v2, v9
	v_fma_f32 v1, v4, v31, -v32
	v_sub_f32_e32 v19, v30, v42
	v_fma_f32 v4, v8, v39, -v40
	v_fma_f32 v8, v14, v29, -v49
	;; [unrolled: 1-line block ×3, first 2 shown]
	v_sub_f32_e32 v29, v6, v9
	v_dual_sub_f32 v3, v45, v46 :: v_dual_add_f32 v18, v6, v9
	v_sub_f32_e32 v39, v9, v2
	v_dual_sub_f32 v31, v8, v2 :: v_dual_fmac_f32 v34, v11, v33
	v_mul_f32_e32 v28, v13, v28
	v_dual_add_f32 v13, v46, v48 :: v_dual_sub_f32 v14, v8, v6
	v_add_f32_e32 v51, v17, v45
	s_delay_alu instid0(VALU_DEP_4) | instskip(NEXT) | instid1(VALU_DEP_4)
	v_sub_f32_e32 v25, v38, v34
	v_fma_f32 v5, v12, v27, -v28
	v_sub_f32_e32 v27, v30, v38
	v_fma_f32 v0, v0, v35, -v36
	v_dual_sub_f32 v35, v48, v47 :: v_dual_add_f32 v32, v38, v34
	v_dual_sub_f32 v11, v1, v4 :: v_dual_sub_f32 v28, v42, v34
	s_delay_alu instid0(VALU_DEP_3)
	v_sub_f32_e32 v53, v0, v4
	v_dual_sub_f32 v12, v5, v0 :: v_dual_sub_f32 v33, v46, v45
	v_dual_add_f32 v36, v45, v47 :: v_dual_sub_f32 v41, v38, v30
	v_dual_sub_f32 v37, v6, v8 :: v_dual_add_f32 v40, v8, v2
	v_sub_f32_e32 v55, v46, v48
	v_dual_sub_f32 v49, v34, v42 :: v_dual_sub_f32 v52, v5, v1
	v_dual_add_f32 v50, v30, v42 :: v_dual_sub_f32 v57, v4, v0
	v_add_f32_e32 v30, v26, v30
	v_dual_add_f32 v54, v1, v4 :: v_dual_add_f32 v3, v3, v7
	v_sub_f32_e32 v45, v45, v47
	v_dual_sub_f32 v56, v1, v5 :: v_dual_add_f32 v7, v14, v15
	v_dual_add_f32 v58, v5, v0 :: v_dual_add_f32 v5, v16, v5
	v_add_f32_e32 v8, v10, v8
	v_fma_f32 v59, -0.5, v13, v17
	v_fma_f32 v15, -0.5, v32, v26
	;; [unrolled: 1-line block ×3, first 2 shown]
	v_dual_add_f32 v14, v27, v28 :: v_dual_add_f32 v1, v5, v1
	v_fma_f32 v17, -0.5, v36, v17
	v_add_f32_e32 v27, v37, v39
	v_dual_add_f32 v18, v33, v35 :: v_dual_add_f32 v5, v8, v6
	v_fma_f32 v10, -0.5, v40, v10
	v_dual_add_f32 v28, v41, v49 :: v_dual_fmamk_f32 v37, v31, 0x3f737871, v15
	v_fma_f32 v26, -0.5, v50, v26
	s_delay_alu instid0(VALU_DEP_3)
	v_dual_add_f32 v32, v51, v46 :: v_dual_fmamk_f32 v39, v25, 0x3f737871, v10
	v_dual_add_f32 v30, v30, v38 :: v_dual_add_f32 v33, v52, v53
	v_fma_f32 v35, -0.5, v54, v16
	v_fma_f32 v16, -0.5, v58, v16
	v_fmamk_f32 v6, v12, 0x3f737871, v59
	v_dual_fmamk_f32 v8, v19, 0xbf737871, v13 :: v_dual_add_f32 v1, v1, v4
	v_dual_fmamk_f32 v40, v29, 0xbf737871, v26 :: v_dual_fmac_f32 v15, 0xbf737871, v31
	v_dual_fmac_f32 v26, 0x3f737871, v29 :: v_dual_fmac_f32 v13, 0x3f737871, v19
	v_add_f32_e32 v32, v32, v48
	v_fmamk_f32 v38, v11, 0xbf737871, v17
	v_dual_fmac_f32 v17, 0x3f737871, v11 :: v_dual_add_f32 v30, v30, v34
	v_fmac_f32_e32 v37, 0x3f167918, v29
	v_fmamk_f32 v41, v55, 0x3f737871, v16
	v_dual_fmac_f32 v6, 0x3f167918, v11 :: v_dual_fmac_f32 v13, 0x3f167918, v25
	v_dual_add_f32 v36, v56, v57 :: v_dual_fmac_f32 v59, 0xbf737871, v12
	v_fmac_f32_e32 v10, 0xbf737871, v25
	v_dual_add_f32 v4, v5, v9 :: v_dual_fmac_f32 v39, 0xbf167918, v19
	s_delay_alu instid0(VALU_DEP_4)
	v_dual_add_f32 v9, v30, v42 :: v_dual_fmac_f32 v6, 0x3e9e377a, v3
	v_fmac_f32_e32 v37, 0x3e9e377a, v14
	v_fmamk_f32 v34, v45, 0xbf737871, v35
	v_fmac_f32_e32 v35, 0x3f737871, v45
	v_add_f32_e32 v5, v32, v47
	v_fmac_f32_e32 v40, 0x3f167918, v31
	v_fmac_f32_e32 v16, 0xbf737871, v55
	s_delay_alu instid0(VALU_DEP_4) | instskip(SKIP_3) | instid1(VALU_DEP_3)
	v_dual_fmac_f32 v38, 0x3f167918, v12 :: v_dual_fmac_f32 v35, 0x3f167918, v55
	v_dual_fmac_f32 v59, 0xbf167918, v11 :: v_dual_add_f32 v2, v4, v2
	v_add_f32_e32 v11, v1, v0
	v_dual_sub_f32 v1, v5, v9 :: v_dual_fmac_f32 v40, 0x3e9e377a, v28
	v_fmac_f32_e32 v59, 0x3e9e377a, v3
	v_dual_fmac_f32 v8, 0xbf167918, v25 :: v_dual_fmac_f32 v17, 0xbf167918, v12
	v_dual_fmac_f32 v10, 0x3f167918, v19 :: v_dual_add_f32 v3, v5, v9
	v_dual_fmac_f32 v38, 0x3e9e377a, v18 :: v_dual_fmac_f32 v39, 0x3e9e377a, v27
	v_dual_sub_f32 v0, v11, v2 :: v_dual_mul_f32 v5, 0x3e9e377a, v40
	s_delay_alu instid0(VALU_DEP_4) | instskip(SKIP_1) | instid1(VALU_DEP_3)
	v_dual_fmac_f32 v8, 0x3e9e377a, v7 :: v_dual_fmac_f32 v17, 0x3e9e377a, v18
	v_dual_fmac_f32 v26, 0xbf167918, v31 :: v_dual_fmac_f32 v15, 0xbf167918, v29
	v_fma_f32 v19, 0xbf737871, v39, -v5
	v_mul_f32_e32 v4, 0x3f4f1bbd, v37
	v_fmac_f32_e32 v41, 0xbf167918, v45
	s_delay_alu instid0(VALU_DEP_4) | instskip(SKIP_1) | instid1(VALU_DEP_4)
	v_dual_fmac_f32 v26, 0x3e9e377a, v28 :: v_dual_fmac_f32 v15, 0x3e9e377a, v14
	v_fmac_f32_e32 v10, 0x3e9e377a, v27
	v_fma_f32 v18, 0xbf167918, v8, -v4
	s_delay_alu instid0(VALU_DEP_4) | instskip(NEXT) | instid1(VALU_DEP_4)
	v_fmac_f32_e32 v41, 0x3e9e377a, v36
	v_dual_fmac_f32 v16, 0x3f167918, v45 :: v_dual_mul_f32 v27, 0x3f167918, v15
	s_delay_alu instid0(VALU_DEP_4) | instskip(NEXT) | instid1(VALU_DEP_4)
	v_mul_f32_e32 v12, 0xbf737871, v10
	v_dual_sub_f32 v5, v6, v18 :: v_dual_fmac_f32 v34, 0xbf167918, v55
	v_dual_fmac_f32 v13, 0x3e9e377a, v7 :: v_dual_add_f32 v2, v11, v2
	v_mul_f32_e32 v7, 0x3f4f1bbd, v8
	v_dual_fmac_f32 v16, 0x3e9e377a, v36 :: v_dual_fmac_f32 v35, 0x3e9e377a, v33
	s_delay_alu instid0(VALU_DEP_4) | instskip(NEXT) | instid1(VALU_DEP_4)
	v_fmac_f32_e32 v34, 0x3e9e377a, v33
	v_mul_f32_e32 v14, 0xbf167918, v13
	s_delay_alu instid0(VALU_DEP_1) | instskip(SKIP_2) | instid1(VALU_DEP_3)
	v_dual_fmac_f32 v27, 0x3f4f1bbd, v13 :: v_dual_fmac_f32 v14, 0x3f4f1bbd, v15
	v_add_f32_e32 v15, v38, v19
	v_dual_mul_f32 v9, 0x3e9e377a, v39 :: v_dual_fmac_f32 v12, 0x3e9e377a, v26
	v_sub_f32_e32 v11, v59, v14
	s_delay_alu instid0(VALU_DEP_2) | instskip(SKIP_3) | instid1(VALU_DEP_4)
	v_fma_f32 v28, 0x3f737871, v40, -v9
	v_mul_f32_e32 v25, 0x3f737871, v26
	v_fma_f32 v26, 0x3f167918, v37, -v7
	v_sub_f32_e32 v7, v38, v19
	v_dual_add_f32 v19, v59, v14 :: v_dual_add_f32 v14, v41, v28
	s_delay_alu instid0(VALU_DEP_4) | instskip(SKIP_2) | instid1(VALU_DEP_3)
	v_fmac_f32_e32 v25, 0x3e9e377a, v10
	v_dual_add_f32 v13, v6, v18 :: v_dual_add_f32 v18, v35, v27
	v_dual_sub_f32 v9, v17, v12 :: v_dual_sub_f32 v4, v34, v26
	v_dual_add_f32 v17, v17, v12 :: v_dual_sub_f32 v8, v16, v25
	v_add_f32_e32 v16, v16, v25
	v_add_f32_e32 v12, v34, v26
	v_sub_f32_e32 v10, v35, v27
	v_sub_f32_e32 v6, v41, v28
	ds_store_2addr_b64 v24, v[2:3], v[18:19] offset1:80
	ds_store_2addr_b64 v24, v[16:17], v[14:15] offset0:160 offset1:240
	ds_store_2addr_b64 v21, v[12:13], v[0:1] offset0:64 offset1:144
	;; [unrolled: 1-line block ×4, first 2 shown]
.LBB0_17:
	s_wait_alu 0xfffe
	s_or_b32 exec_lo, exec_lo, s2
	global_wb scope:SCOPE_SE
	s_wait_dscnt 0x0
	s_barrier_signal -1
	s_barrier_wait -1
	global_inv scope:SCOPE_SE
	ds_load_b64 v[0:1], v24
	v_lshlrev_b32_e32 v2, 3, v20
	s_mov_b32 s2, exec_lo
                                        ; implicit-def: $vgpr3
                                        ; implicit-def: $vgpr7
                                        ; implicit-def: $vgpr4_vgpr5
	s_delay_alu instid0(VALU_DEP_1)
	v_sub_nc_u32_e32 v6, 0, v2
	v_cmpx_ne_u32_e32 0, v20
	s_wait_alu 0xfffe
	s_xor_b32 s2, exec_lo, s2
	s_cbranch_execz .LBB0_19
; %bb.18:
	ds_load_b64 v[7:8], v6 offset:6400
	v_mov_b32_e32 v21, 0
	s_delay_alu instid0(VALU_DEP_1) | instskip(NEXT) | instid1(VALU_DEP_1)
	v_lshlrev_b64_e32 v[2:3], 3, v[20:21]
	v_add_co_u32 v2, s1, s4, v2
	s_wait_alu 0xf1ff
	s_delay_alu instid0(VALU_DEP_2) | instskip(SKIP_4) | instid1(VALU_DEP_2)
	v_add_co_ci_u32_e64 v3, s1, s5, v3, s1
	global_load_b64 v[3:4], v[2:3], off offset:6272
	s_wait_dscnt 0x0
	v_sub_f32_e32 v2, v0, v7
	v_add_f32_e32 v5, v8, v1
	v_dual_sub_f32 v1, v1, v8 :: v_dual_mul_f32 v8, 0.5, v2
	s_delay_alu instid0(VALU_DEP_2) | instskip(NEXT) | instid1(VALU_DEP_2)
	v_mul_f32_e32 v2, 0.5, v5
	v_dual_add_f32 v0, v7, v0 :: v_dual_mul_f32 v1, 0.5, v1
	s_wait_loadcnt 0x0
	s_delay_alu instid0(VALU_DEP_3) | instskip(NEXT) | instid1(VALU_DEP_2)
	v_mul_f32_e32 v5, v4, v8
	v_fma_f32 v7, v2, v4, v1
	v_fma_f32 v1, v2, v4, -v1
	s_delay_alu instid0(VALU_DEP_3) | instskip(SKIP_1) | instid1(VALU_DEP_4)
	v_fma_f32 v9, 0.5, v0, v5
	v_fma_f32 v0, v0, 0.5, -v5
	v_fma_f32 v7, -v3, v8, v7
	v_dual_mov_b32 v4, v20 :: v_dual_mov_b32 v5, v21
	s_delay_alu instid0(VALU_DEP_4) | instskip(NEXT) | instid1(VALU_DEP_4)
	v_fmac_f32_e32 v9, v3, v2
	v_fma_f32 v2, -v3, v2, v0
	v_fma_f32 v3, -v3, v8, v1
                                        ; implicit-def: $vgpr0_vgpr1
	ds_store_b32 v24, v9
.LBB0_19:
	s_wait_alu 0xfffe
	s_and_not1_saveexec_b32 s1, s2
	s_cbranch_execz .LBB0_21
; %bb.20:
	s_wait_dscnt 0x0
	v_dual_mov_b32 v7, 0 :: v_dual_add_f32 v8, v0, v1
	v_mov_b32_e32 v4, 0
	v_dual_sub_f32 v2, v0, v1 :: v_dual_mov_b32 v5, 0
	ds_load_b32 v3, v7 offset:3204
	s_wait_dscnt 0x0
	v_xor_b32_e32 v0, 0x80000000, v3
	v_mov_b32_e32 v3, v7
	ds_store_b32 v24, v8
	ds_store_b32 v7, v0 offset:3204
.LBB0_21:
	s_wait_alu 0xfffe
	s_or_b32 exec_lo, exec_lo, s1
	s_wait_dscnt 0x0
	v_lshlrev_b64_e32 v[0:1], 3, v[4:5]
	s_add_nc_u64 s[2:3], s[4:5], 0x1880
	s_wait_alu 0xfffe
	s_delay_alu instid0(VALU_DEP_1) | instskip(SKIP_1) | instid1(VALU_DEP_2)
	v_add_co_u32 v4, s1, s2, v0
	s_wait_alu 0xf1ff
	v_add_co_ci_u32_e64 v5, s1, s3, v1, s1
	global_load_b64 v[8:9], v[4:5], off offset:1280
	ds_store_b32 v24, v7 offset:4
	ds_store_b64 v6, v[2:3] offset:6400
	ds_load_b64 v[2:3], v24 offset:1280
	ds_load_b64 v[10:11], v6 offset:5120
	s_wait_dscnt 0x0
	v_dual_sub_f32 v7, v2, v10 :: v_dual_add_f32 v12, v3, v11
	v_dual_sub_f32 v3, v3, v11 :: v_dual_add_f32 v10, v2, v10
	s_delay_alu instid0(VALU_DEP_2) | instskip(NEXT) | instid1(VALU_DEP_3)
	v_mul_f32_e32 v7, 0.5, v7
	v_mul_f32_e32 v11, 0.5, v12
	s_delay_alu instid0(VALU_DEP_3) | instskip(SKIP_1) | instid1(VALU_DEP_3)
	v_mul_f32_e32 v3, 0.5, v3
	s_wait_loadcnt 0x0
	v_mul_f32_e32 v12, v9, v7
	s_delay_alu instid0(VALU_DEP_2) | instskip(SKIP_1) | instid1(VALU_DEP_3)
	v_fma_f32 v13, v11, v9, v3
	v_fma_f32 v9, v11, v9, -v3
	v_fma_f32 v2, 0.5, v10, v12
	v_fma_f32 v10, v10, 0.5, -v12
	s_delay_alu instid0(VALU_DEP_4) | instskip(NEXT) | instid1(VALU_DEP_4)
	v_fma_f32 v3, -v8, v7, v13
	v_fma_f32 v9, -v8, v7, v9
	s_delay_alu instid0(VALU_DEP_4) | instskip(NEXT) | instid1(VALU_DEP_4)
	v_fmac_f32_e32 v2, v8, v11
	v_fma_f32 v8, -v8, v11, v10
	ds_store_b64 v24, v[2:3] offset:1280
	ds_store_b64 v6, v[8:9] offset:5120
	s_and_saveexec_b32 s1, s0
	s_cbranch_execz .LBB0_23
; %bb.22:
	global_load_b64 v[2:3], v[4:5], off offset:2560
	ds_load_b64 v[4:5], v24 offset:2560
	ds_load_b64 v[7:8], v6 offset:3840
	s_wait_dscnt 0x0
	v_dual_sub_f32 v9, v4, v7 :: v_dual_add_f32 v10, v5, v8
	v_dual_sub_f32 v5, v5, v8 :: v_dual_add_f32 v4, v4, v7
	s_delay_alu instid0(VALU_DEP_2) | instskip(NEXT) | instid1(VALU_DEP_2)
	v_dual_mul_f32 v8, 0.5, v9 :: v_dual_mul_f32 v9, 0.5, v10
	v_mul_f32_e32 v5, 0.5, v5
	s_wait_loadcnt 0x0
	s_delay_alu instid0(VALU_DEP_2) | instskip(NEXT) | instid1(VALU_DEP_2)
	v_mul_f32_e32 v7, v3, v8
	v_fma_f32 v10, v9, v3, v5
	v_fma_f32 v5, v9, v3, -v5
	s_delay_alu instid0(VALU_DEP_3) | instskip(SKIP_1) | instid1(VALU_DEP_4)
	v_fma_f32 v3, 0.5, v4, v7
	v_fma_f32 v7, v4, 0.5, -v7
	v_fma_f32 v4, -v2, v8, v10
	s_delay_alu instid0(VALU_DEP_4) | instskip(NEXT) | instid1(VALU_DEP_4)
	v_fma_f32 v8, -v2, v8, v5
	v_fmac_f32_e32 v3, v2, v9
	s_delay_alu instid0(VALU_DEP_4)
	v_fma_f32 v7, -v2, v9, v7
	ds_store_b64 v24, v[3:4] offset:2560
	ds_store_b64 v6, v[7:8] offset:3840
.LBB0_23:
	s_wait_alu 0xfffe
	s_or_b32 exec_lo, exec_lo, s1
	global_wb scope:SCOPE_SE
	s_wait_dscnt 0x0
	s_barrier_signal -1
	s_barrier_wait -1
	global_inv scope:SCOPE_SE
	s_and_saveexec_b32 s0, vcc_lo
	s_cbranch_execz .LBB0_26
; %bb.24:
	v_add_nc_u32_e32 v2, 0x800, v24
	ds_load_2addr_b64 v[4:7], v24 offset1:160
	ds_load_2addr_b64 v[8:11], v2 offset0:64 offset1:224
	ds_load_b64 v[12:13], v24 offset:5120
	v_add_co_u32 v2, vcc_lo, s8, v22
	s_wait_alu 0xfffd
	v_add_co_ci_u32_e32 v3, vcc_lo, s9, v23, vcc_lo
	s_delay_alu instid0(VALU_DEP_2) | instskip(SKIP_1) | instid1(VALU_DEP_2)
	v_add_co_u32 v0, vcc_lo, v2, v0
	s_wait_alu 0xfffd
	v_add_co_ci_u32_e32 v1, vcc_lo, v3, v1, vcc_lo
	v_cmp_eq_u32_e32 vcc_lo, 0x9f, v20
	s_wait_dscnt 0x2
	s_clause 0x1
	global_store_b64 v[0:1], v[4:5], off
	global_store_b64 v[0:1], v[6:7], off offset:1280
	s_wait_dscnt 0x1
	s_clause 0x1
	global_store_b64 v[0:1], v[8:9], off offset:2560
	global_store_b64 v[0:1], v[10:11], off offset:3840
	s_wait_dscnt 0x0
	global_store_b64 v[0:1], v[12:13], off offset:5120
	s_and_b32 exec_lo, exec_lo, vcc_lo
	s_cbranch_execz .LBB0_26
; %bb.25:
	v_mov_b32_e32 v0, 0
	ds_load_b64 v[0:1], v0 offset:6400
	s_wait_dscnt 0x0
	global_store_b64 v[2:3], v[0:1], off offset:6400
.LBB0_26:
	s_nop 0
	s_sendmsg sendmsg(MSG_DEALLOC_VGPRS)
	s_endpgm
	.section	.rodata,"a",@progbits
	.p2align	6, 0x0
	.amdhsa_kernel fft_rtc_fwd_len800_factors_16_5_10_wgs_160_tpt_160_halfLds_sp_ip_CI_unitstride_sbrr_R2C_dirReg
		.amdhsa_group_segment_fixed_size 0
		.amdhsa_private_segment_fixed_size 0
		.amdhsa_kernarg_size 88
		.amdhsa_user_sgpr_count 2
		.amdhsa_user_sgpr_dispatch_ptr 0
		.amdhsa_user_sgpr_queue_ptr 0
		.amdhsa_user_sgpr_kernarg_segment_ptr 1
		.amdhsa_user_sgpr_dispatch_id 0
		.amdhsa_user_sgpr_private_segment_size 0
		.amdhsa_wavefront_size32 1
		.amdhsa_uses_dynamic_stack 0
		.amdhsa_enable_private_segment 0
		.amdhsa_system_sgpr_workgroup_id_x 1
		.amdhsa_system_sgpr_workgroup_id_y 0
		.amdhsa_system_sgpr_workgroup_id_z 0
		.amdhsa_system_sgpr_workgroup_info 0
		.amdhsa_system_vgpr_workitem_id 0
		.amdhsa_next_free_vgpr 60
		.amdhsa_next_free_sgpr 32
		.amdhsa_reserve_vcc 1
		.amdhsa_float_round_mode_32 0
		.amdhsa_float_round_mode_16_64 0
		.amdhsa_float_denorm_mode_32 3
		.amdhsa_float_denorm_mode_16_64 3
		.amdhsa_fp16_overflow 0
		.amdhsa_workgroup_processor_mode 1
		.amdhsa_memory_ordered 1
		.amdhsa_forward_progress 0
		.amdhsa_round_robin_scheduling 0
		.amdhsa_exception_fp_ieee_invalid_op 0
		.amdhsa_exception_fp_denorm_src 0
		.amdhsa_exception_fp_ieee_div_zero 0
		.amdhsa_exception_fp_ieee_overflow 0
		.amdhsa_exception_fp_ieee_underflow 0
		.amdhsa_exception_fp_ieee_inexact 0
		.amdhsa_exception_int_div_zero 0
	.end_amdhsa_kernel
	.text
.Lfunc_end0:
	.size	fft_rtc_fwd_len800_factors_16_5_10_wgs_160_tpt_160_halfLds_sp_ip_CI_unitstride_sbrr_R2C_dirReg, .Lfunc_end0-fft_rtc_fwd_len800_factors_16_5_10_wgs_160_tpt_160_halfLds_sp_ip_CI_unitstride_sbrr_R2C_dirReg
                                        ; -- End function
	.section	.AMDGPU.csdata,"",@progbits
; Kernel info:
; codeLenInByte = 5804
; NumSgprs: 34
; NumVgprs: 60
; ScratchSize: 0
; MemoryBound: 0
; FloatMode: 240
; IeeeMode: 1
; LDSByteSize: 0 bytes/workgroup (compile time only)
; SGPRBlocks: 4
; VGPRBlocks: 7
; NumSGPRsForWavesPerEU: 34
; NumVGPRsForWavesPerEU: 60
; Occupancy: 15
; WaveLimiterHint : 1
; COMPUTE_PGM_RSRC2:SCRATCH_EN: 0
; COMPUTE_PGM_RSRC2:USER_SGPR: 2
; COMPUTE_PGM_RSRC2:TRAP_HANDLER: 0
; COMPUTE_PGM_RSRC2:TGID_X_EN: 1
; COMPUTE_PGM_RSRC2:TGID_Y_EN: 0
; COMPUTE_PGM_RSRC2:TGID_Z_EN: 0
; COMPUTE_PGM_RSRC2:TIDIG_COMP_CNT: 0
	.text
	.p2alignl 7, 3214868480
	.fill 96, 4, 3214868480
	.type	__hip_cuid_47d731a9e96f02de,@object ; @__hip_cuid_47d731a9e96f02de
	.section	.bss,"aw",@nobits
	.globl	__hip_cuid_47d731a9e96f02de
__hip_cuid_47d731a9e96f02de:
	.byte	0                               ; 0x0
	.size	__hip_cuid_47d731a9e96f02de, 1

	.ident	"AMD clang version 19.0.0git (https://github.com/RadeonOpenCompute/llvm-project roc-6.4.0 25133 c7fe45cf4b819c5991fe208aaa96edf142730f1d)"
	.section	".note.GNU-stack","",@progbits
	.addrsig
	.addrsig_sym __hip_cuid_47d731a9e96f02de
	.amdgpu_metadata
---
amdhsa.kernels:
  - .args:
      - .actual_access:  read_only
        .address_space:  global
        .offset:         0
        .size:           8
        .value_kind:     global_buffer
      - .offset:         8
        .size:           8
        .value_kind:     by_value
      - .actual_access:  read_only
        .address_space:  global
        .offset:         16
        .size:           8
        .value_kind:     global_buffer
      - .actual_access:  read_only
        .address_space:  global
        .offset:         24
        .size:           8
        .value_kind:     global_buffer
      - .offset:         32
        .size:           8
        .value_kind:     by_value
      - .actual_access:  read_only
        .address_space:  global
        .offset:         40
        .size:           8
        .value_kind:     global_buffer
      - .actual_access:  read_only
        .address_space:  global
        .offset:         48
        .size:           8
        .value_kind:     global_buffer
      - .offset:         56
        .size:           4
        .value_kind:     by_value
      - .actual_access:  read_only
        .address_space:  global
        .offset:         64
        .size:           8
        .value_kind:     global_buffer
      - .actual_access:  read_only
        .address_space:  global
        .offset:         72
        .size:           8
        .value_kind:     global_buffer
      - .address_space:  global
        .offset:         80
        .size:           8
        .value_kind:     global_buffer
    .group_segment_fixed_size: 0
    .kernarg_segment_align: 8
    .kernarg_segment_size: 88
    .language:       OpenCL C
    .language_version:
      - 2
      - 0
    .max_flat_workgroup_size: 160
    .name:           fft_rtc_fwd_len800_factors_16_5_10_wgs_160_tpt_160_halfLds_sp_ip_CI_unitstride_sbrr_R2C_dirReg
    .private_segment_fixed_size: 0
    .sgpr_count:     34
    .sgpr_spill_count: 0
    .symbol:         fft_rtc_fwd_len800_factors_16_5_10_wgs_160_tpt_160_halfLds_sp_ip_CI_unitstride_sbrr_R2C_dirReg.kd
    .uniform_work_group_size: 1
    .uses_dynamic_stack: false
    .vgpr_count:     60
    .vgpr_spill_count: 0
    .wavefront_size: 32
    .workgroup_processor_mode: 1
amdhsa.target:   amdgcn-amd-amdhsa--gfx1201
amdhsa.version:
  - 1
  - 2
...

	.end_amdgpu_metadata
